;; amdgpu-corpus repo=zjin-lcf/HeCBench kind=compiled arch=gfx906 opt=O3
	.amdgcn_target "amdgcn-amd-amdhsa--gfx906"
	.amdhsa_code_object_version 6
	.text
	.protected	_Z26MurmurHash3_x64_128_kernelPKhPKjS2_Pmj ; -- Begin function _Z26MurmurHash3_x64_128_kernelPKhPKjS2_Pmj
	.globl	_Z26MurmurHash3_x64_128_kernelPKhPKjS2_Pmj
	.p2align	8
	.type	_Z26MurmurHash3_x64_128_kernelPKhPKjS2_Pmj,@function
_Z26MurmurHash3_x64_128_kernelPKhPKjS2_Pmj: ; @_Z26MurmurHash3_x64_128_kernelPKhPKjS2_Pmj
; %bb.0:
	s_load_dword s0, s[4:5], 0x34
	s_load_dword s1, s[4:5], 0x20
	s_waitcnt lgkmcnt(0)
	s_and_b32 s0, s0, 0xffff
	s_mul_i32 s6, s6, s0
	v_add_u32_e32 v0, s6, v0
	v_cmp_gt_u32_e32 vcc, s1, v0
	s_and_saveexec_b64 s[0:1], vcc
	s_cbranch_execz .LBB0_56
; %bb.1:
	s_load_dwordx8 s[8:15], s[4:5], 0x0
	v_mov_b32_e32 v1, 0
	v_lshlrev_b64 v[2:3], 2, v[0:1]
	s_waitcnt lgkmcnt(0)
	v_mov_b32_e32 v5, s13
	v_add_co_u32_e32 v4, vcc, s12, v2
	v_addc_co_u32_e32 v5, vcc, v5, v3, vcc
	v_mov_b32_e32 v6, s11
	v_add_co_u32_e32 v2, vcc, s10, v2
	global_load_dword v13, v[4:5], off
	v_addc_co_u32_e32 v3, vcc, v6, v3, vcc
	global_load_dword v11, v[2:3], off
	v_mov_b32_e32 v2, v1
	v_mov_b32_e32 v1, v0
	;; [unrolled: 1-line block ×4, first 2 shown]
	s_waitcnt vmcnt(1)
	v_cmp_lt_u32_e32 vcc, 15, v13
	s_and_saveexec_b64 s[2:3], vcc
	s_cbranch_execz .LBB0_5
; %bb.2:
	v_mov_b32_e32 v3, s9
	s_waitcnt vmcnt(0)
	v_add_co_u32_e32 v4, vcc, s8, v11
	v_addc_co_u32_e32 v3, vcc, 0, v3, vcc
	v_add_co_u32_e32 v5, vcc, 14, v4
	v_addc_co_u32_e32 v6, vcc, 0, v3, vcc
	v_mov_b32_e32 v7, 0x52dce729
	v_mov_b32_e32 v9, 0x38495ab5
	;; [unrolled: 1-line block ×3, first 2 shown]
	v_lshrrev_b32_e32 v12, 4, v13
	s_mov_b64 s[4:5], 0
	s_mov_b32 s6, 0x114253d5
	s_mov_b32 s7, 0x87c37b91
	;; [unrolled: 1-line block ×3, first 2 shown]
	s_brev_b32 s11, 1
	s_mov_b32 s12, 0x2745937f
	s_mov_b32 s13, 0x4cf5ad43
	v_mov_b32_e32 v8, 0
	s_mov_b32 s16, 0x4e8b26fe
	v_mov_b32_e32 v10, 0
	v_mov_b32_e32 v14, 16
	;; [unrolled: 1-line block ×4, first 2 shown]
.LBB0_3:                                ; =>This Inner Loop Header: Depth=1
	global_load_dwordx4 v[16:19], v[5:6], off offset:-14
	v_add_u32_e32 v12, -1, v12
	s_waitcnt vmcnt(0)
	v_and_b32_e32 v16, 0xff00, v17
	v_or_b32_sdwa v16, v17, v16 dst_sel:DWORD dst_unused:UNUSED_PAD src0_sel:BYTE_0 src1_sel:DWORD
	v_and_b32_e32 v20, 0xff000000, v17
	v_lshlrev_b32_sdwa v17, v14, v17 dst_sel:DWORD dst_unused:UNUSED_PAD src0_sel:DWORD src1_sel:BYTE_2
	v_or3_b32 v16, v16, v17, v20
	global_load_dword v17, v[5:6], off offset:-14
	v_mul_lo_u32 v22, v16, s6
	v_mul_lo_u32 v23, v18, s16
	s_waitcnt vmcnt(0)
	v_mul_lo_u32 v20, v17, s7
	v_mul_hi_u32 v21, v17, s6
	v_add3_u32 v20, v21, v20, v22
	v_lshlrev_b32_e32 v21, 31, v16
	v_mul_lo_u32 v22, v17, s10
	v_mad_u64_u32 v[16:17], s[0:1], v17, s11, 0
	v_lshrrev_b32_e32 v20, 1, v20
	v_add3_u32 v17, v17, v22, v21
	v_or_b32_e32 v16, v20, v16
	v_mul_lo_u32 v20, v17, s12
	v_mul_lo_u32 v21, v16, s13
	v_mad_u64_u32 v[16:17], s[0:1], v16, s12, 0
	v_mul_lo_u32 v22, v18, s13
	v_xor_b32_e32 v1, v16, v1
	v_lshlrev_b32_sdwa v16, v15, v19 dst_sel:DWORD dst_unused:UNUSED_PAD src0_sel:DWORD src1_sel:BYTE_1
	v_add3_u32 v17, v17, v21, v20
	v_or_b32_sdwa v20, v19, v16 dst_sel:DWORD dst_unused:UNUSED_PAD src0_sel:BYTE_0 src1_sel:DWORD
	v_and_b32_e32 v21, 0xff000000, v19
	v_lshlrev_b32_sdwa v19, v14, v19 dst_sel:DWORD dst_unused:UNUSED_PAD src0_sel:DWORD src1_sel:BYTE_2
	v_xor_b32_e32 v2, v17, v2
	v_mad_u64_u32 v[16:17], s[0:1], v18, s12, 0
	v_or3_b32 v18, v20, v19, v21
	v_mul_lo_u32 v18, v18, s12
	v_add3_u32 v17, v17, v22, v18
	v_lshrrev_b64 v[18:19], 31, v[16:17]
	v_alignbit_b32 v16, v17, v16, 31
	v_or_b32_e32 v18, v19, v23
	v_mul_lo_u32 v18, v18, s6
	v_mul_lo_u32 v19, v16, s7
	v_mad_u64_u32 v[16:17], s[0:1], v16, s6, 0
	v_add3_u32 v17, v17, v19, v18
	v_lshrrev_b32_e32 v18, 5, v2
	v_lshlrev_b64 v[1:2], 27, v[1:2]
	v_xor_b32_e32 v16, v16, v3
	v_or_b32_e32 v1, v1, v18
	v_add_co_u32_e32 v1, vcc, v1, v3
	v_addc_co_u32_e32 v3, vcc, v2, v4, vcc
	v_mad_u64_u32 v[1:2], s[0:1], v1, 5, v[7:8]
	v_xor_b32_e32 v17, v17, v4
	v_lshrrev_b32_e32 v18, 1, v17
	v_mad_u64_u32 v[2:3], s[0:1], v3, 5, v[2:3]
	v_lshlrev_b64 v[3:4], 31, v[16:17]
	v_or_b32_e32 v3, v3, v18
	v_add_co_u32_e32 v3, vcc, v3, v1
	v_addc_co_u32_e32 v16, vcc, v4, v2, vcc
	v_mad_u64_u32 v[3:4], s[0:1], v3, 5, v[9:10]
	v_mad_u64_u32 v[16:17], s[0:1], v16, 5, v[4:5]
	v_add_co_u32_e32 v5, vcc, 16, v5
	v_cmp_eq_u32_e64 s[0:1], 0, v12
	v_mov_b32_e32 v4, v16
	s_or_b64 s[4:5], s[0:1], s[4:5]
	v_addc_co_u32_e32 v6, vcc, 0, v6, vcc
	s_andn2_b64 exec, exec, s[4:5]
	s_cbranch_execnz .LBB0_3
; %bb.4:
	s_or_b64 exec, exec, s[4:5]
.LBB0_5:
	s_or_b64 exec, exec, s[2:3]
	v_mov_b32_e32 v5, s9
	s_waitcnt vmcnt(0)
	v_add_co_u32_e32 v6, vcc, s8, v11
	v_addc_co_u32_e32 v7, vcc, 0, v5, vcc
	v_and_b32_e32 v5, -16, v13
	v_add_co_u32_e32 v5, vcc, v6, v5
	v_addc_co_u32_e32 v6, vcc, 0, v7, vcc
	v_and_b32_e32 v14, 15, v13
	v_cmp_lt_i32_e32 vcc, 7, v14
	s_mov_b64 s[0:1], 0
	s_mov_b64 s[4:5], 0
                                        ; implicit-def: $vgpr9_vgpr10
                                        ; implicit-def: $vgpr7_vgpr8
	s_and_saveexec_b64 s[2:3], vcc
	s_xor_b64 s[2:3], exec, s[2:3]
	s_cbranch_execz .LBB0_29
; %bb.6:
	v_cmp_lt_i32_e32 vcc, 11, v14
	s_mov_b64 s[8:9], 0
                                        ; implicit-def: $vgpr7_vgpr8
	s_and_saveexec_b64 s[6:7], vcc
	s_xor_b64 s[6:7], exec, s[6:7]
	s_cbranch_execz .LBB0_16
; %bb.7:
	v_cmp_lt_i32_e32 vcc, 13, v14
                                        ; implicit-def: $vgpr9_vgpr10
	s_and_saveexec_b64 s[10:11], vcc
	s_xor_b64 s[10:11], exec, s[10:11]
	s_cbranch_execz .LBB0_11
; %bb.8:
	v_mov_b32_e32 v9, 0
	v_mov_b32_e32 v10, 0
	v_cmp_lt_i32_e32 vcc, 14, v14
	s_and_saveexec_b64 s[8:9], vcc
	s_cbranch_execz .LBB0_10
; %bb.9:
	global_load_ubyte v7, v[5:6], off offset:14
	v_mov_b32_e32 v9, 0
	s_waitcnt vmcnt(0)
	v_lshlrev_b32_e32 v10, 16, v7
.LBB0_10:
	s_or_b64 exec, exec, s[8:9]
	global_load_ubyte v7, v[5:6], off offset:13
	s_mov_b64 s[8:9], exec
	s_waitcnt vmcnt(0)
	v_lshlrev_b32_e32 v7, 8, v7
	v_or_b32_e32 v10, v7, v10
.LBB0_11:
	s_andn2_saveexec_b64 s[10:11], s[10:11]
; %bb.12:
	v_cmp_lt_i32_e32 vcc, 12, v14
	v_mov_b32_e32 v9, 0
	s_andn2_b64 s[8:9], s[8:9], exec
	s_and_b64 s[12:13], vcc, exec
	v_mov_b32_e32 v10, 0
	s_or_b64 s[8:9], s[8:9], s[12:13]
; %bb.13:
	s_or_b64 exec, exec, s[10:11]
	v_mov_b32_e32 v7, 0
	v_mov_b32_e32 v8, 0
	s_and_saveexec_b64 s[10:11], s[8:9]
	s_cbranch_execz .LBB0_15
; %bb.14:
	global_load_ubyte v7, v[5:6], off offset:12
	s_waitcnt vmcnt(0)
	v_xor_b32_e32 v10, v7, v10
	v_mov_b32_e32 v7, v9
	v_mov_b32_e32 v8, v10
.LBB0_15:
	s_or_b64 exec, exec, s[10:11]
	global_load_ubyte v9, v[5:6], off offset:11
	s_mov_b64 s[8:9], exec
	s_waitcnt vmcnt(0)
	v_lshlrev_b32_e32 v9, 24, v9
	v_xor_b32_e32 v7, v9, v7
.LBB0_16:
	s_or_saveexec_b64 s[10:11], s[6:7]
	s_mov_b64 s[6:7], 0
	s_xor_b64 exec, exec, s[10:11]
	s_cbranch_execz .LBB0_20
; %bb.17:
	v_cmp_lt_i32_e32 vcc, 9, v14
	s_mov_b64 s[6:7], -1
	s_mov_b64 s[12:13], s[8:9]
	s_and_saveexec_b64 s[16:17], vcc
; %bb.18:
	v_cmp_lt_i32_e32 vcc, 10, v14
	s_andn2_b64 s[12:13], s[8:9], exec
	s_and_b64 s[18:19], vcc, exec
	s_mov_b64 s[4:5], exec
	s_xor_b64 s[6:7], exec, -1
	s_or_b64 s[12:13], s[12:13], s[18:19]
; %bb.19:
	s_or_b64 exec, exec, s[16:17]
	v_mov_b32_e32 v7, 0
	s_andn2_b64 s[8:9], s[8:9], exec
	s_and_b64 s[12:13], s[12:13], exec
	v_mov_b32_e32 v8, 0
	s_and_b64 s[6:7], s[6:7], exec
	s_and_b64 s[4:5], s[4:5], exec
	s_or_b64 s[8:9], s[8:9], s[12:13]
.LBB0_20:
	s_or_b64 exec, exec, s[10:11]
	v_mov_b32_e32 v9, 0
	v_mov_b32_e32 v10, 0
	s_and_saveexec_b64 s[10:11], s[8:9]
	s_cbranch_execz .LBB0_22
; %bb.21:
	global_load_ubyte v9, v[5:6], off offset:10
	s_or_b64 s[4:5], s[4:5], exec
	s_waitcnt vmcnt(0)
	v_lshlrev_b32_e32 v9, 16, v9
	v_xor_b32_e32 v7, v9, v7
	v_mov_b32_e32 v10, v8
	v_mov_b32_e32 v9, v7
.LBB0_22:
	s_or_b64 exec, exec, s[10:11]
	s_mov_b64 s[8:9], 0
	s_and_saveexec_b64 s[10:11], s[4:5]
	s_xor_b64 s[4:5], exec, s[10:11]
	s_cbranch_execz .LBB0_24
; %bb.23:
	global_load_ubyte v7, v[5:6], off offset:9
	s_mov_b64 s[8:9], exec
	s_waitcnt vmcnt(0)
	v_lshlrev_b32_e32 v7, 8, v7
	v_xor_b32_e32 v9, v7, v9
.LBB0_24:
	s_or_b64 exec, exec, s[4:5]
	s_and_saveexec_b64 s[4:5], s[6:7]
; %bb.25:
	v_cmp_lt_i32_e32 vcc, 8, v14
	v_mov_b32_e32 v9, 0
	s_andn2_b64 s[6:7], s[8:9], exec
	s_and_b64 s[8:9], vcc, exec
	v_mov_b32_e32 v10, 0
	s_or_b64 s[8:9], s[6:7], s[8:9]
; %bb.26:
	s_or_b64 exec, exec, s[4:5]
	v_mov_b32_e32 v8, v4
	v_mov_b32_e32 v7, v3
	s_and_saveexec_b64 s[4:5], s[8:9]
	s_cbranch_execz .LBB0_28
; %bb.27:
	global_load_ubyte v7, v[5:6], off offset:8
	s_mov_b32 s6, 0x2745937f
	s_mov_b32 s7, 0x4cf5ad43
	v_mul_lo_u32 v10, v10, s6
	s_mov_b32 s8, 0x4e8b26fe
	s_mov_b32 s9, 0x114253d5
	s_waitcnt vmcnt(0)
	v_xor_b32_e32 v9, v9, v7
	v_mul_lo_u32 v11, v9, s7
	v_mad_u64_u32 v[7:8], s[6:7], v9, s6, 0
	v_mul_lo_u32 v12, v9, s8
	s_mov_b32 s6, 0x87c37b91
	v_add3_u32 v8, v8, v11, v10
	v_lshrrev_b64 v[9:10], 31, v[7:8]
	v_alignbit_b32 v7, v8, v7, 31
	v_or_b32_e32 v10, v10, v12
	v_mul_lo_u32 v9, v7, s6
	v_mad_u64_u32 v[7:8], s[6:7], v7, s9, 0
	v_mul_lo_u32 v10, v10, s9
	v_xor_b32_e32 v7, v7, v3
	v_add3_u32 v8, v8, v9, v10
	v_xor_b32_e32 v8, v8, v4
.LBB0_28:
	s_or_b64 exec, exec, s[4:5]
	global_load_ubyte v9, v[5:6], off offset:7
	s_mov_b64 s[4:5], exec
	s_waitcnt vmcnt(0)
	v_lshlrev_b32_e32 v10, 24, v9
	v_mov_b32_e32 v9, 0
.LBB0_29:
	s_or_saveexec_b64 s[6:7], s[2:3]
	s_mov_b64 s[8:9], 0
	s_mov_b64 s[2:3], 0
	s_xor_b64 exec, exec, s[6:7]
	s_cbranch_execz .LBB0_35
; %bb.30:
	v_cmp_lt_i32_e32 vcc, 3, v14
	s_mov_b64 s[10:11], 0
	s_mov_b64 s[2:3], -1
	s_mov_b64 s[12:13], s[4:5]
	s_mov_b64 s[16:17], 0
	s_and_saveexec_b64 s[0:1], vcc
	s_cbranch_execz .LBB0_34
; %bb.31:
	v_cmp_lt_i32_e32 vcc, 5, v14
	s_mov_b64 s[10:11], -1
	s_mov_b64 s[12:13], s[4:5]
	s_and_saveexec_b64 s[2:3], vcc
; %bb.32:
	v_cmp_lt_i32_e32 vcc, 6, v14
	s_andn2_b64 s[12:13], s[4:5], exec
	s_and_b64 s[16:17], vcc, exec
	s_mov_b64 s[8:9], exec
	s_xor_b64 s[10:11], exec, -1
	s_or_b64 s[12:13], s[12:13], s[16:17]
; %bb.33:
	s_or_b64 exec, exec, s[2:3]
	s_and_b64 s[16:17], s[10:11], exec
	s_and_b64 s[10:11], s[8:9], exec
	s_andn2_b64 s[8:9], s[4:5], exec
	s_and_b64 s[12:13], s[12:13], exec
	s_xor_b64 s[2:3], exec, -1
	s_or_b64 s[12:13], s[8:9], s[12:13]
.LBB0_34:
	s_or_b64 exec, exec, s[0:1]
	v_mov_b32_e32 v9, 0
	s_and_b64 s[0:1], s[10:11], exec
	s_andn2_b64 s[4:5], s[4:5], exec
	s_and_b64 s[10:11], s[12:13], exec
	v_mov_b32_e32 v8, v4
	v_mov_b32_e32 v10, 0
	s_and_b64 s[2:3], s[2:3], exec
	s_and_b64 s[8:9], s[16:17], exec
	s_or_b64 s[4:5], s[4:5], s[10:11]
	v_mov_b32_e32 v7, v3
.LBB0_35:
	s_or_b64 exec, exec, s[6:7]
	v_mov_b32_e32 v11, 0
	v_mov_b32_e32 v12, 0
	s_and_saveexec_b64 s[6:7], s[4:5]
	s_cbranch_execz .LBB0_37
; %bb.36:
	global_load_ubyte v11, v[5:6], off offset:6
	s_or_b64 s[0:1], s[0:1], exec
	s_waitcnt vmcnt(0)
	v_lshlrev_b32_e32 v11, 16, v11
	v_or_b32_e32 v10, v11, v10
	v_mov_b32_e32 v12, v10
	v_mov_b32_e32 v11, v9
.LBB0_37:
	s_or_b64 exec, exec, s[6:7]
	s_mov_b64 s[4:5], 0
	s_mov_b64 s[6:7], 0
	s_and_saveexec_b64 s[10:11], s[0:1]
	s_xor_b64 s[0:1], exec, s[10:11]
	s_cbranch_execz .LBB0_39
; %bb.38:
	global_load_ubyte v9, v[5:6], off offset:5
	s_mov_b64 s[6:7], exec
	s_waitcnt vmcnt(0)
	v_lshlrev_b32_e32 v9, 8, v9
	v_xor_b32_e32 v12, v9, v12
.LBB0_39:
	s_or_b64 exec, exec, s[0:1]
	s_and_saveexec_b64 s[0:1], s[8:9]
; %bb.40:
	v_cmp_lt_i32_e32 vcc, 4, v14
	v_mov_b32_e32 v11, 0
	s_andn2_b64 s[6:7], s[6:7], exec
	s_and_b64 s[8:9], vcc, exec
	v_mov_b32_e32 v8, v4
	s_mov_b64 s[4:5], exec
	v_mov_b32_e32 v12, 0
	s_or_b64 s[6:7], s[6:7], s[8:9]
	v_mov_b32_e32 v7, v3
; %bb.41:
	s_or_b64 exec, exec, s[0:1]
	v_mov_b32_e32 v9, 0
	v_mov_b32_e32 v10, 0
	s_and_saveexec_b64 s[0:1], s[6:7]
	s_cbranch_execz .LBB0_43
; %bb.42:
	global_load_ubyte v9, v[5:6], off offset:4
	s_or_b64 s[4:5], s[4:5], exec
	s_waitcnt vmcnt(0)
	v_xor_b32_e32 v12, v9, v12
	v_mov_b32_e32 v9, v11
	v_mov_b32_e32 v10, v12
.LBB0_43:
	s_or_b64 exec, exec, s[0:1]
	s_mov_b64 s[6:7], 0
	s_mov_b64 s[0:1], 0
	s_and_saveexec_b64 s[8:9], s[4:5]
	s_xor_b64 s[4:5], exec, s[8:9]
	s_cbranch_execz .LBB0_45
; %bb.44:
	global_load_ubyte v11, v[5:6], off offset:3
	s_mov_b64 s[0:1], exec
	s_waitcnt vmcnt(0)
	v_lshlrev_b32_e32 v11, 24, v11
	v_xor_b32_e32 v9, v11, v9
.LBB0_45:
	s_or_b64 exec, exec, s[4:5]
	s_mov_b64 s[4:5], 0
	s_and_saveexec_b64 s[8:9], s[2:3]
	s_cbranch_execz .LBB0_49
; %bb.46:
	v_cmp_lt_i32_e32 vcc, 1, v14
	s_mov_b64 s[2:3], 0
	s_mov_b64 s[4:5], -1
	s_mov_b64 s[10:11], s[0:1]
	s_and_saveexec_b64 s[6:7], vcc
; %bb.47:
	v_cmp_lt_i32_e32 vcc, 2, v14
	s_andn2_b64 s[10:11], s[0:1], exec
	s_and_b64 s[12:13], vcc, exec
	s_mov_b64 s[2:3], exec
	s_xor_b64 s[4:5], exec, -1
	s_or_b64 s[10:11], s[10:11], s[12:13]
; %bb.48:
	s_or_b64 exec, exec, s[6:7]
	v_mov_b32_e32 v9, 0
	s_and_b64 s[6:7], s[2:3], exec
	s_andn2_b64 s[0:1], s[0:1], exec
	s_and_b64 s[2:3], s[10:11], exec
	v_mov_b32_e32 v8, v4
	v_mov_b32_e32 v10, 0
	s_and_b64 s[4:5], s[4:5], exec
	s_or_b64 s[0:1], s[0:1], s[2:3]
	v_mov_b32_e32 v7, v3
.LBB0_49:
	s_or_b64 exec, exec, s[8:9]
	v_mov_b32_e32 v11, 0
	v_mov_b32_e32 v12, 0
	s_and_saveexec_b64 s[2:3], s[0:1]
	s_cbranch_execz .LBB0_51
; %bb.50:
	global_load_ubyte v11, v[5:6], off offset:2
	s_or_b64 s[6:7], s[6:7], exec
	s_waitcnt vmcnt(0)
	v_lshlrev_b32_e32 v11, 16, v11
	v_xor_b32_e32 v9, v11, v9
	v_mov_b32_e32 v12, v10
	v_mov_b32_e32 v11, v9
.LBB0_51:
	s_or_b64 exec, exec, s[2:3]
	s_mov_b64 s[0:1], 0
	s_and_saveexec_b64 s[2:3], s[6:7]
	s_xor_b64 s[2:3], exec, s[2:3]
	s_cbranch_execnz .LBB0_57
; %bb.52:
	s_or_b64 exec, exec, s[2:3]
	s_and_saveexec_b64 s[2:3], s[4:5]
	s_cbranch_execnz .LBB0_58
.LBB0_53:
	s_or_b64 exec, exec, s[2:3]
	s_and_saveexec_b64 s[2:3], s[0:1]
	s_cbranch_execz .LBB0_55
.LBB0_54:
	global_load_ubyte v3, v[5:6], off
	s_mov_b32 s0, 0x114253d5
	s_mov_b32 s1, 0x87c37b91
	;; [unrolled: 1-line block ×3, first 2 shown]
	s_brev_b32 s5, 1
	v_mul_lo_u32 v6, v12, s0
	v_lshlrev_b32_e32 v5, 31, v12
	s_waitcnt vmcnt(0)
	v_xor_b32_e32 v3, v11, v3
	v_mul_lo_u32 v9, v3, s1
	v_mul_hi_u32 v10, v3, s0
	v_mul_lo_u32 v11, v3, s4
	v_mad_u64_u32 v[3:4], s[0:1], v3, s5, 0
	v_add3_u32 v6, v10, v9, v6
	s_mov_b32 s0, 0x2745937f
	v_add3_u32 v4, v4, v11, v5
	v_lshrrev_b32_e32 v5, 1, v6
	s_mov_b32 s1, 0x4cf5ad43
	v_or_b32_e32 v3, v5, v3
	v_mul_lo_u32 v6, v4, s0
	v_mul_lo_u32 v5, v3, s1
	v_mad_u64_u32 v[3:4], s[0:1], v3, s0, 0
	v_add3_u32 v4, v4, v5, v6
	v_xor_b32_e32 v2, v4, v2
	v_xor_b32_e32 v1, v3, v1
.LBB0_55:
	s_or_b64 exec, exec, s[2:3]
	v_lshlrev_b32_e32 v3, 1, v0
	v_mov_b32_e32 v4, 0
	v_lshlrev_b64 v[3:4], 3, v[3:4]
	v_mov_b32_e32 v0, s15
	v_add_co_u32_e32 v5, vcc, s14, v3
	v_addc_co_u32_e32 v6, vcc, v0, v4, vcc
	v_xor_b32_e32 v0, v1, v13
	v_xor_b32_e32 v3, v7, v13
	v_add_co_u32_e32 v4, vcc, v0, v3
	v_addc_co_u32_e32 v2, vcc, v2, v8, vcc
	v_lshrrev_b32_e32 v0, 1, v2
	v_xor_b32_e32 v0, v0, v4
	s_mov_b32 s2, 0xff51afd7
	s_mov_b32 s3, 0xed558ccd
	v_mul_lo_u32 v7, v0, s2
	v_mad_u64_u32 v[0:1], s[0:1], v0, s3, 0
	v_mul_lo_u32 v9, v2, s3
	v_add_co_u32_e32 v3, vcc, v4, v3
	v_addc_co_u32_e32 v2, vcc, v2, v8, vcc
	v_add3_u32 v1, v1, v7, v9
	v_lshrrev_b32_e32 v4, 1, v1
	v_xor_b32_e32 v4, v4, v0
	v_lshrrev_b32_e32 v0, 1, v2
	s_mov_b32 s4, 0x1a85ec53
	v_xor_b32_e32 v0, v0, v3
	v_mul_lo_u32 v7, v1, s4
	v_mul_lo_u32 v8, v0, s2
	v_mad_u64_u32 v[0:1], s[0:1], v0, s3, 0
	v_mul_lo_u32 v9, v2, s3
	s_mov_b32 s5, 0xc4ceb9fe
	v_mul_lo_u32 v10, v4, s5
	v_mad_u64_u32 v[2:3], s[0:1], v4, s4, 0
	v_add3_u32 v1, v1, v8, v9
	v_lshrrev_b32_e32 v4, 1, v1
	v_xor_b32_e32 v0, v4, v0
	v_mul_lo_u32 v4, v1, s4
	v_mul_lo_u32 v8, v0, s5
	v_mad_u64_u32 v[0:1], s[0:1], v0, s4, 0
	v_add3_u32 v3, v3, v10, v7
	v_lshrrev_b32_e32 v7, 1, v3
	v_add3_u32 v4, v1, v8, v4
	v_lshrrev_b32_e32 v1, 1, v4
	v_xor_b32_e32 v2, v7, v2
	v_xor_b32_e32 v7, v1, v0
	v_add_co_u32_e32 v0, vcc, v7, v2
	v_addc_co_u32_e32 v1, vcc, v4, v3, vcc
	v_add_co_u32_e32 v2, vcc, v0, v7
	v_addc_co_u32_e32 v3, vcc, v1, v4, vcc
	global_store_dwordx4 v[5:6], v[0:3], off
.LBB0_56:
	s_endpgm
.LBB0_57:
	global_load_ubyte v9, v[5:6], off offset:1
	s_mov_b64 s[0:1], exec
	s_waitcnt vmcnt(0)
	v_lshlrev_b32_e32 v9, 8, v9
	v_xor_b32_e32 v11, v9, v11
	s_or_b64 exec, exec, s[2:3]
	s_and_saveexec_b64 s[2:3], s[4:5]
	s_cbranch_execz .LBB0_53
.LBB0_58:
	v_cmp_eq_u32_e32 vcc, 1, v14
	v_mov_b32_e32 v11, 0
	s_andn2_b64 s[0:1], s[0:1], exec
	s_and_b64 s[4:5], vcc, exec
	v_mov_b32_e32 v8, v4
	v_mov_b32_e32 v12, 0
	s_or_b64 s[0:1], s[0:1], s[4:5]
	v_mov_b32_e32 v7, v3
	s_or_b64 exec, exec, s[2:3]
	s_and_saveexec_b64 s[2:3], s[0:1]
	s_cbranch_execnz .LBB0_54
	s_branch .LBB0_55
	.section	.rodata,"a",@progbits
	.p2align	6, 0x0
	.amdhsa_kernel _Z26MurmurHash3_x64_128_kernelPKhPKjS2_Pmj
		.amdhsa_group_segment_fixed_size 0
		.amdhsa_private_segment_fixed_size 0
		.amdhsa_kernarg_size 296
		.amdhsa_user_sgpr_count 6
		.amdhsa_user_sgpr_private_segment_buffer 1
		.amdhsa_user_sgpr_dispatch_ptr 0
		.amdhsa_user_sgpr_queue_ptr 0
		.amdhsa_user_sgpr_kernarg_segment_ptr 1
		.amdhsa_user_sgpr_dispatch_id 0
		.amdhsa_user_sgpr_flat_scratch_init 0
		.amdhsa_user_sgpr_private_segment_size 0
		.amdhsa_uses_dynamic_stack 0
		.amdhsa_system_sgpr_private_segment_wavefront_offset 0
		.amdhsa_system_sgpr_workgroup_id_x 1
		.amdhsa_system_sgpr_workgroup_id_y 0
		.amdhsa_system_sgpr_workgroup_id_z 0
		.amdhsa_system_sgpr_workgroup_info 0
		.amdhsa_system_vgpr_workitem_id 0
		.amdhsa_next_free_vgpr 24
		.amdhsa_next_free_sgpr 20
		.amdhsa_reserve_vcc 1
		.amdhsa_reserve_flat_scratch 0
		.amdhsa_float_round_mode_32 0
		.amdhsa_float_round_mode_16_64 0
		.amdhsa_float_denorm_mode_32 3
		.amdhsa_float_denorm_mode_16_64 3
		.amdhsa_dx10_clamp 1
		.amdhsa_ieee_mode 1
		.amdhsa_fp16_overflow 0
		.amdhsa_exception_fp_ieee_invalid_op 0
		.amdhsa_exception_fp_denorm_src 0
		.amdhsa_exception_fp_ieee_div_zero 0
		.amdhsa_exception_fp_ieee_overflow 0
		.amdhsa_exception_fp_ieee_underflow 0
		.amdhsa_exception_fp_ieee_inexact 0
		.amdhsa_exception_int_div_zero 0
	.end_amdhsa_kernel
	.text
.Lfunc_end0:
	.size	_Z26MurmurHash3_x64_128_kernelPKhPKjS2_Pmj, .Lfunc_end0-_Z26MurmurHash3_x64_128_kernelPKhPKjS2_Pmj
                                        ; -- End function
	.set _Z26MurmurHash3_x64_128_kernelPKhPKjS2_Pmj.num_vgpr, 24
	.set _Z26MurmurHash3_x64_128_kernelPKhPKjS2_Pmj.num_agpr, 0
	.set _Z26MurmurHash3_x64_128_kernelPKhPKjS2_Pmj.numbered_sgpr, 20
	.set _Z26MurmurHash3_x64_128_kernelPKhPKjS2_Pmj.num_named_barrier, 0
	.set _Z26MurmurHash3_x64_128_kernelPKhPKjS2_Pmj.private_seg_size, 0
	.set _Z26MurmurHash3_x64_128_kernelPKhPKjS2_Pmj.uses_vcc, 1
	.set _Z26MurmurHash3_x64_128_kernelPKhPKjS2_Pmj.uses_flat_scratch, 0
	.set _Z26MurmurHash3_x64_128_kernelPKhPKjS2_Pmj.has_dyn_sized_stack, 0
	.set _Z26MurmurHash3_x64_128_kernelPKhPKjS2_Pmj.has_recursion, 0
	.set _Z26MurmurHash3_x64_128_kernelPKhPKjS2_Pmj.has_indirect_call, 0
	.section	.AMDGPU.csdata,"",@progbits
; Kernel info:
; codeLenInByte = 2524
; TotalNumSgprs: 24
; NumVgprs: 24
; ScratchSize: 0
; MemoryBound: 0
; FloatMode: 240
; IeeeMode: 1
; LDSByteSize: 0 bytes/workgroup (compile time only)
; SGPRBlocks: 2
; VGPRBlocks: 5
; NumSGPRsForWavesPerEU: 24
; NumVGPRsForWavesPerEU: 24
; Occupancy: 10
; WaveLimiterHint : 1
; COMPUTE_PGM_RSRC2:SCRATCH_EN: 0
; COMPUTE_PGM_RSRC2:USER_SGPR: 6
; COMPUTE_PGM_RSRC2:TRAP_HANDLER: 0
; COMPUTE_PGM_RSRC2:TGID_X_EN: 1
; COMPUTE_PGM_RSRC2:TGID_Y_EN: 0
; COMPUTE_PGM_RSRC2:TGID_Z_EN: 0
; COMPUTE_PGM_RSRC2:TIDIG_COMP_CNT: 0
	.section	.AMDGPU.gpr_maximums,"",@progbits
	.set amdgpu.max_num_vgpr, 0
	.set amdgpu.max_num_agpr, 0
	.set amdgpu.max_num_sgpr, 0
	.section	.AMDGPU.csdata,"",@progbits
	.type	__hip_cuid_d6fc13aa55e26797,@object ; @__hip_cuid_d6fc13aa55e26797
	.section	.bss,"aw",@nobits
	.globl	__hip_cuid_d6fc13aa55e26797
__hip_cuid_d6fc13aa55e26797:
	.byte	0                               ; 0x0
	.size	__hip_cuid_d6fc13aa55e26797, 1

	.ident	"AMD clang version 22.0.0git (https://github.com/RadeonOpenCompute/llvm-project roc-7.2.4 26084 f58b06dce1f9c15707c5f808fd002e18c2accf7e)"
	.section	".note.GNU-stack","",@progbits
	.addrsig
	.addrsig_sym __hip_cuid_d6fc13aa55e26797
	.amdgpu_metadata
---
amdhsa.kernels:
  - .args:
      - .actual_access:  read_only
        .address_space:  global
        .offset:         0
        .size:           8
        .value_kind:     global_buffer
      - .actual_access:  read_only
        .address_space:  global
        .offset:         8
        .size:           8
        .value_kind:     global_buffer
      - .actual_access:  read_only
        .address_space:  global
        .offset:         16
        .size:           8
        .value_kind:     global_buffer
      - .actual_access:  write_only
        .address_space:  global
        .offset:         24
        .size:           8
        .value_kind:     global_buffer
      - .offset:         32
        .size:           4
        .value_kind:     by_value
      - .offset:         40
        .size:           4
        .value_kind:     hidden_block_count_x
      - .offset:         44
        .size:           4
        .value_kind:     hidden_block_count_y
      - .offset:         48
        .size:           4
        .value_kind:     hidden_block_count_z
      - .offset:         52
        .size:           2
        .value_kind:     hidden_group_size_x
      - .offset:         54
        .size:           2
        .value_kind:     hidden_group_size_y
      - .offset:         56
        .size:           2
        .value_kind:     hidden_group_size_z
      - .offset:         58
        .size:           2
        .value_kind:     hidden_remainder_x
      - .offset:         60
        .size:           2
        .value_kind:     hidden_remainder_y
      - .offset:         62
        .size:           2
        .value_kind:     hidden_remainder_z
      - .offset:         80
        .size:           8
        .value_kind:     hidden_global_offset_x
      - .offset:         88
        .size:           8
        .value_kind:     hidden_global_offset_y
      - .offset:         96
        .size:           8
        .value_kind:     hidden_global_offset_z
      - .offset:         104
        .size:           2
        .value_kind:     hidden_grid_dims
    .group_segment_fixed_size: 0
    .kernarg_segment_align: 8
    .kernarg_segment_size: 296
    .language:       OpenCL C
    .language_version:
      - 2
      - 0
    .max_flat_workgroup_size: 1024
    .name:           _Z26MurmurHash3_x64_128_kernelPKhPKjS2_Pmj
    .private_segment_fixed_size: 0
    .sgpr_count:     24
    .sgpr_spill_count: 0
    .symbol:         _Z26MurmurHash3_x64_128_kernelPKhPKjS2_Pmj.kd
    .uniform_work_group_size: 1
    .uses_dynamic_stack: false
    .vgpr_count:     24
    .vgpr_spill_count: 0
    .wavefront_size: 64
amdhsa.target:   amdgcn-amd-amdhsa--gfx906
amdhsa.version:
  - 1
  - 2
...

	.end_amdgpu_metadata
